;; amdgpu-corpus repo=ROCm/rocFFT kind=compiled arch=gfx1201 opt=O3
	.text
	.amdgcn_target "amdgcn-amd-amdhsa--gfx1201"
	.amdhsa_code_object_version 6
	.protected	fft_rtc_back_len882_factors_9_7_7_2_wgs_63_tpt_63_dp_ip_CI_unitstride_sbrr_C2R_dirReg ; -- Begin function fft_rtc_back_len882_factors_9_7_7_2_wgs_63_tpt_63_dp_ip_CI_unitstride_sbrr_C2R_dirReg
	.globl	fft_rtc_back_len882_factors_9_7_7_2_wgs_63_tpt_63_dp_ip_CI_unitstride_sbrr_C2R_dirReg
	.p2align	8
	.type	fft_rtc_back_len882_factors_9_7_7_2_wgs_63_tpt_63_dp_ip_CI_unitstride_sbrr_C2R_dirReg,@function
fft_rtc_back_len882_factors_9_7_7_2_wgs_63_tpt_63_dp_ip_CI_unitstride_sbrr_C2R_dirReg: ; @fft_rtc_back_len882_factors_9_7_7_2_wgs_63_tpt_63_dp_ip_CI_unitstride_sbrr_C2R_dirReg
; %bb.0:
	s_clause 0x2
	s_load_b128 s[4:7], s[0:1], 0x0
	s_load_b64 s[8:9], s[0:1], 0x50
	s_load_b64 s[10:11], s[0:1], 0x18
	v_mul_u32_u24_e32 v1, 0x411, v0
	v_mov_b32_e32 v3, 0
	s_delay_alu instid0(VALU_DEP_2) | instskip(NEXT) | instid1(VALU_DEP_1)
	v_lshrrev_b32_e32 v1, 16, v1
	v_add_nc_u32_e32 v5, ttmp9, v1
	v_mov_b32_e32 v1, 0
	v_mov_b32_e32 v2, 0
	;; [unrolled: 1-line block ×3, first 2 shown]
	s_wait_kmcnt 0x0
	v_cmp_lt_u64_e64 s2, s[6:7], 2
	s_delay_alu instid0(VALU_DEP_1)
	s_and_b32 vcc_lo, exec_lo, s2
	s_cbranch_vccnz .LBB0_8
; %bb.1:
	s_load_b64 s[2:3], s[0:1], 0x10
	v_mov_b32_e32 v1, 0
	v_mov_b32_e32 v2, 0
	s_add_nc_u64 s[12:13], s[10:11], 8
	s_mov_b64 s[14:15], 1
	s_wait_kmcnt 0x0
	s_add_nc_u64 s[16:17], s[2:3], 8
	s_mov_b32 s3, 0
.LBB0_2:                                ; =>This Inner Loop Header: Depth=1
	s_load_b64 s[18:19], s[16:17], 0x0
                                        ; implicit-def: $vgpr7_vgpr8
	s_mov_b32 s2, exec_lo
	s_wait_kmcnt 0x0
	v_or_b32_e32 v4, s19, v6
	s_delay_alu instid0(VALU_DEP_1)
	v_cmpx_ne_u64_e32 0, v[3:4]
	s_wait_alu 0xfffe
	s_xor_b32 s20, exec_lo, s2
	s_cbranch_execz .LBB0_4
; %bb.3:                                ;   in Loop: Header=BB0_2 Depth=1
	s_cvt_f32_u32 s2, s18
	s_cvt_f32_u32 s21, s19
	s_sub_nc_u64 s[24:25], 0, s[18:19]
	s_wait_alu 0xfffe
	s_delay_alu instid0(SALU_CYCLE_1) | instskip(SKIP_1) | instid1(SALU_CYCLE_2)
	s_fmamk_f32 s2, s21, 0x4f800000, s2
	s_wait_alu 0xfffe
	v_s_rcp_f32 s2, s2
	s_delay_alu instid0(TRANS32_DEP_1) | instskip(SKIP_1) | instid1(SALU_CYCLE_2)
	s_mul_f32 s2, s2, 0x5f7ffffc
	s_wait_alu 0xfffe
	s_mul_f32 s21, s2, 0x2f800000
	s_wait_alu 0xfffe
	s_delay_alu instid0(SALU_CYCLE_2) | instskip(SKIP_1) | instid1(SALU_CYCLE_2)
	s_trunc_f32 s21, s21
	s_wait_alu 0xfffe
	s_fmamk_f32 s2, s21, 0xcf800000, s2
	s_cvt_u32_f32 s23, s21
	s_wait_alu 0xfffe
	s_delay_alu instid0(SALU_CYCLE_1) | instskip(SKIP_1) | instid1(SALU_CYCLE_2)
	s_cvt_u32_f32 s22, s2
	s_wait_alu 0xfffe
	s_mul_u64 s[26:27], s[24:25], s[22:23]
	s_wait_alu 0xfffe
	s_mul_hi_u32 s29, s22, s27
	s_mul_i32 s28, s22, s27
	s_mul_hi_u32 s2, s22, s26
	s_mul_i32 s30, s23, s26
	s_wait_alu 0xfffe
	s_add_nc_u64 s[28:29], s[2:3], s[28:29]
	s_mul_hi_u32 s21, s23, s26
	s_mul_hi_u32 s31, s23, s27
	s_add_co_u32 s2, s28, s30
	s_wait_alu 0xfffe
	s_add_co_ci_u32 s2, s29, s21
	s_mul_i32 s26, s23, s27
	s_add_co_ci_u32 s27, s31, 0
	s_wait_alu 0xfffe
	s_add_nc_u64 s[26:27], s[2:3], s[26:27]
	s_wait_alu 0xfffe
	v_add_co_u32 v4, s2, s22, s26
	s_delay_alu instid0(VALU_DEP_1) | instskip(SKIP_1) | instid1(VALU_DEP_1)
	s_cmp_lg_u32 s2, 0
	s_add_co_ci_u32 s23, s23, s27
	v_readfirstlane_b32 s22, v4
	s_wait_alu 0xfffe
	s_delay_alu instid0(VALU_DEP_1)
	s_mul_u64 s[24:25], s[24:25], s[22:23]
	s_wait_alu 0xfffe
	s_mul_hi_u32 s27, s22, s25
	s_mul_i32 s26, s22, s25
	s_mul_hi_u32 s2, s22, s24
	s_mul_i32 s28, s23, s24
	s_wait_alu 0xfffe
	s_add_nc_u64 s[26:27], s[2:3], s[26:27]
	s_mul_hi_u32 s21, s23, s24
	s_mul_hi_u32 s22, s23, s25
	s_wait_alu 0xfffe
	s_add_co_u32 s2, s26, s28
	s_add_co_ci_u32 s2, s27, s21
	s_mul_i32 s24, s23, s25
	s_add_co_ci_u32 s25, s22, 0
	s_wait_alu 0xfffe
	s_add_nc_u64 s[24:25], s[2:3], s[24:25]
	s_wait_alu 0xfffe
	v_add_co_u32 v4, s2, v4, s24
	s_delay_alu instid0(VALU_DEP_1) | instskip(SKIP_1) | instid1(VALU_DEP_1)
	s_cmp_lg_u32 s2, 0
	s_add_co_ci_u32 s2, s23, s25
	v_mul_hi_u32 v13, v5, v4
	s_wait_alu 0xfffe
	v_mad_co_u64_u32 v[7:8], null, v5, s2, 0
	v_mad_co_u64_u32 v[9:10], null, v6, v4, 0
	;; [unrolled: 1-line block ×3, first 2 shown]
	s_delay_alu instid0(VALU_DEP_3) | instskip(SKIP_1) | instid1(VALU_DEP_4)
	v_add_co_u32 v4, vcc_lo, v13, v7
	s_wait_alu 0xfffd
	v_add_co_ci_u32_e32 v7, vcc_lo, 0, v8, vcc_lo
	s_delay_alu instid0(VALU_DEP_2) | instskip(SKIP_1) | instid1(VALU_DEP_2)
	v_add_co_u32 v4, vcc_lo, v4, v9
	s_wait_alu 0xfffd
	v_add_co_ci_u32_e32 v4, vcc_lo, v7, v10, vcc_lo
	s_wait_alu 0xfffd
	v_add_co_ci_u32_e32 v7, vcc_lo, 0, v12, vcc_lo
	s_delay_alu instid0(VALU_DEP_2) | instskip(SKIP_1) | instid1(VALU_DEP_2)
	v_add_co_u32 v4, vcc_lo, v4, v11
	s_wait_alu 0xfffd
	v_add_co_ci_u32_e32 v9, vcc_lo, 0, v7, vcc_lo
	s_delay_alu instid0(VALU_DEP_2) | instskip(SKIP_1) | instid1(VALU_DEP_3)
	v_mul_lo_u32 v10, s19, v4
	v_mad_co_u64_u32 v[7:8], null, s18, v4, 0
	v_mul_lo_u32 v11, s18, v9
	s_delay_alu instid0(VALU_DEP_2) | instskip(NEXT) | instid1(VALU_DEP_2)
	v_sub_co_u32 v7, vcc_lo, v5, v7
	v_add3_u32 v8, v8, v11, v10
	s_delay_alu instid0(VALU_DEP_1) | instskip(SKIP_1) | instid1(VALU_DEP_1)
	v_sub_nc_u32_e32 v10, v6, v8
	s_wait_alu 0xfffd
	v_subrev_co_ci_u32_e64 v10, s2, s19, v10, vcc_lo
	v_add_co_u32 v11, s2, v4, 2
	s_wait_alu 0xf1ff
	v_add_co_ci_u32_e64 v12, s2, 0, v9, s2
	v_sub_co_u32 v13, s2, v7, s18
	v_sub_co_ci_u32_e32 v8, vcc_lo, v6, v8, vcc_lo
	s_wait_alu 0xf1ff
	v_subrev_co_ci_u32_e64 v10, s2, 0, v10, s2
	s_delay_alu instid0(VALU_DEP_3) | instskip(NEXT) | instid1(VALU_DEP_3)
	v_cmp_le_u32_e32 vcc_lo, s18, v13
	v_cmp_eq_u32_e64 s2, s19, v8
	s_wait_alu 0xfffd
	v_cndmask_b32_e64 v13, 0, -1, vcc_lo
	v_cmp_le_u32_e32 vcc_lo, s19, v10
	s_wait_alu 0xfffd
	v_cndmask_b32_e64 v14, 0, -1, vcc_lo
	v_cmp_le_u32_e32 vcc_lo, s18, v7
	;; [unrolled: 3-line block ×3, first 2 shown]
	s_wait_alu 0xfffd
	v_cndmask_b32_e64 v15, 0, -1, vcc_lo
	v_cmp_eq_u32_e32 vcc_lo, s19, v10
	s_wait_alu 0xf1ff
	s_delay_alu instid0(VALU_DEP_2)
	v_cndmask_b32_e64 v7, v15, v7, s2
	s_wait_alu 0xfffd
	v_cndmask_b32_e32 v10, v14, v13, vcc_lo
	v_add_co_u32 v13, vcc_lo, v4, 1
	s_wait_alu 0xfffd
	v_add_co_ci_u32_e32 v14, vcc_lo, 0, v9, vcc_lo
	s_delay_alu instid0(VALU_DEP_3) | instskip(SKIP_2) | instid1(VALU_DEP_3)
	v_cmp_ne_u32_e32 vcc_lo, 0, v10
	s_wait_alu 0xfffd
	v_cndmask_b32_e32 v10, v13, v11, vcc_lo
	v_cndmask_b32_e32 v8, v14, v12, vcc_lo
	v_cmp_ne_u32_e32 vcc_lo, 0, v7
	s_wait_alu 0xfffd
	s_delay_alu instid0(VALU_DEP_2)
	v_dual_cndmask_b32 v7, v4, v10 :: v_dual_cndmask_b32 v8, v9, v8
.LBB0_4:                                ;   in Loop: Header=BB0_2 Depth=1
	s_wait_alu 0xfffe
	s_and_not1_saveexec_b32 s2, s20
	s_cbranch_execz .LBB0_6
; %bb.5:                                ;   in Loop: Header=BB0_2 Depth=1
	v_cvt_f32_u32_e32 v4, s18
	s_sub_co_i32 s20, 0, s18
	s_delay_alu instid0(VALU_DEP_1) | instskip(NEXT) | instid1(TRANS32_DEP_1)
	v_rcp_iflag_f32_e32 v4, v4
	v_mul_f32_e32 v4, 0x4f7ffffe, v4
	s_delay_alu instid0(VALU_DEP_1) | instskip(SKIP_1) | instid1(VALU_DEP_1)
	v_cvt_u32_f32_e32 v4, v4
	s_wait_alu 0xfffe
	v_mul_lo_u32 v7, s20, v4
	s_delay_alu instid0(VALU_DEP_1) | instskip(NEXT) | instid1(VALU_DEP_1)
	v_mul_hi_u32 v7, v4, v7
	v_add_nc_u32_e32 v4, v4, v7
	s_delay_alu instid0(VALU_DEP_1) | instskip(NEXT) | instid1(VALU_DEP_1)
	v_mul_hi_u32 v4, v5, v4
	v_mul_lo_u32 v7, v4, s18
	v_add_nc_u32_e32 v8, 1, v4
	s_delay_alu instid0(VALU_DEP_2) | instskip(NEXT) | instid1(VALU_DEP_1)
	v_sub_nc_u32_e32 v7, v5, v7
	v_subrev_nc_u32_e32 v9, s18, v7
	v_cmp_le_u32_e32 vcc_lo, s18, v7
	s_wait_alu 0xfffd
	s_delay_alu instid0(VALU_DEP_2) | instskip(NEXT) | instid1(VALU_DEP_1)
	v_dual_cndmask_b32 v7, v7, v9 :: v_dual_cndmask_b32 v4, v4, v8
	v_cmp_le_u32_e32 vcc_lo, s18, v7
	s_delay_alu instid0(VALU_DEP_2) | instskip(SKIP_1) | instid1(VALU_DEP_1)
	v_add_nc_u32_e32 v8, 1, v4
	s_wait_alu 0xfffd
	v_dual_cndmask_b32 v7, v4, v8 :: v_dual_mov_b32 v8, v3
.LBB0_6:                                ;   in Loop: Header=BB0_2 Depth=1
	s_wait_alu 0xfffe
	s_or_b32 exec_lo, exec_lo, s2
	s_load_b64 s[20:21], s[12:13], 0x0
	s_delay_alu instid0(VALU_DEP_1)
	v_mul_lo_u32 v4, v8, s18
	v_mul_lo_u32 v11, v7, s19
	v_mad_co_u64_u32 v[9:10], null, v7, s18, 0
	s_add_nc_u64 s[14:15], s[14:15], 1
	s_add_nc_u64 s[12:13], s[12:13], 8
	s_wait_alu 0xfffe
	v_cmp_ge_u64_e64 s2, s[14:15], s[6:7]
	s_add_nc_u64 s[16:17], s[16:17], 8
	s_delay_alu instid0(VALU_DEP_2) | instskip(NEXT) | instid1(VALU_DEP_3)
	v_add3_u32 v4, v10, v11, v4
	v_sub_co_u32 v5, vcc_lo, v5, v9
	s_wait_alu 0xfffd
	s_delay_alu instid0(VALU_DEP_2) | instskip(SKIP_3) | instid1(VALU_DEP_2)
	v_sub_co_ci_u32_e32 v4, vcc_lo, v6, v4, vcc_lo
	s_and_b32 vcc_lo, exec_lo, s2
	s_wait_kmcnt 0x0
	v_mul_lo_u32 v6, s21, v5
	v_mul_lo_u32 v4, s20, v4
	v_mad_co_u64_u32 v[1:2], null, s20, v5, v[1:2]
	s_delay_alu instid0(VALU_DEP_1)
	v_add3_u32 v2, v6, v2, v4
	s_wait_alu 0xfffe
	s_cbranch_vccnz .LBB0_9
; %bb.7:                                ;   in Loop: Header=BB0_2 Depth=1
	v_dual_mov_b32 v5, v7 :: v_dual_mov_b32 v6, v8
	s_branch .LBB0_2
.LBB0_8:
	v_dual_mov_b32 v8, v6 :: v_dual_mov_b32 v7, v5
.LBB0_9:
	s_lshl_b64 s[2:3], s[6:7], 3
	v_mul_hi_u32 v3, 0x4104105, v0
	s_wait_alu 0xfffe
	s_add_nc_u64 s[2:3], s[10:11], s[2:3]
	s_load_b64 s[2:3], s[2:3], 0x0
	s_load_b64 s[0:1], s[0:1], 0x20
	s_delay_alu instid0(VALU_DEP_1)
	v_mul_u32_u24_e32 v3, 63, v3
	s_wait_kmcnt 0x0
	v_mul_lo_u32 v4, s2, v8
	v_mul_lo_u32 v5, s3, v7
	v_mad_co_u64_u32 v[1:2], null, s2, v7, v[1:2]
	v_cmp_gt_u64_e32 vcc_lo, s[0:1], v[7:8]
	s_delay_alu instid0(VALU_DEP_2) | instskip(SKIP_2) | instid1(VALU_DEP_3)
	v_add3_u32 v2, v5, v2, v4
	v_sub_nc_u32_e32 v4, v0, v3
	v_mov_b32_e32 v5, 0
	v_lshlrev_b64_e32 v[38:39], 4, v[1:2]
	s_delay_alu instid0(VALU_DEP_3)
	v_mov_b32_e32 v36, v4
	s_and_saveexec_b32 s1, vcc_lo
	s_cbranch_execz .LBB0_13
; %bb.10:
	v_lshlrev_b64_e32 v[2:3], 4, v[4:5]
	s_delay_alu instid0(VALU_DEP_3) | instskip(SKIP_3) | instid1(VALU_DEP_3)
	v_add_co_u32 v0, s0, s8, v38
	s_wait_alu 0xf1ff
	v_add_co_ci_u32_e64 v1, s0, s9, v39, s0
	v_lshl_add_u32 v64, v4, 4, 0
	v_add_co_u32 v2, s0, v0, v2
	s_wait_alu 0xf1ff
	s_delay_alu instid0(VALU_DEP_3)
	v_add_co_ci_u32_e64 v3, s0, v1, v3, s0
	s_mov_b32 s2, exec_lo
	s_clause 0xd
	global_load_b128 v[6:9], v[2:3], off
	global_load_b128 v[10:13], v[2:3], off offset:1008
	global_load_b128 v[14:17], v[2:3], off offset:2016
	;; [unrolled: 1-line block ×13, first 2 shown]
	v_dual_mov_b32 v2, v4 :: v_dual_mov_b32 v3, v5
	s_wait_loadcnt 0xd
	ds_store_b128 v64, v[6:9]
	s_wait_loadcnt 0xc
	ds_store_b128 v64, v[10:13] offset:1008
	s_wait_loadcnt 0xb
	ds_store_b128 v64, v[14:17] offset:2016
	;; [unrolled: 2-line block ×13, first 2 shown]
	v_cmpx_eq_u32_e32 62, v4
	s_cbranch_execz .LBB0_12
; %bb.11:
	global_load_b128 v[5:8], v[0:1], off offset:14112
	v_mov_b32_e32 v2, 62
	v_dual_mov_b32 v0, 0 :: v_dual_mov_b32 v3, 0
	v_mov_b32_e32 v4, 62
	s_wait_loadcnt 0x0
	ds_store_b128 v0, v[5:8] offset:14112
.LBB0_12:
	s_wait_alu 0xfffe
	s_or_b32 exec_lo, exec_lo, s2
	v_dual_mov_b32 v36, v4 :: v_dual_mov_b32 v5, v3
	v_mov_b32_e32 v4, v2
.LBB0_13:
	s_wait_alu 0xfffe
	s_or_b32 exec_lo, exec_lo, s1
	s_delay_alu instid0(VALU_DEP_1)
	v_lshlrev_b32_e32 v0, 4, v36
	global_wb scope:SCOPE_SE
	s_wait_dscnt 0x0
	s_barrier_signal -1
	s_barrier_wait -1
	global_inv scope:SCOPE_SE
	v_add_nc_u32_e32 v44, 0, v0
	v_sub_nc_u32_e32 v10, 0, v0
	v_lshlrev_b64_e32 v[40:41], 4, v[4:5]
	s_mov_b32 s1, exec_lo
	ds_load_b64 v[6:7], v44
	ds_load_b64 v[8:9], v10 offset:14112
	s_wait_dscnt 0x0
	v_add_f64_e32 v[0:1], v[6:7], v[8:9]
	v_add_f64_e64 v[2:3], v[6:7], -v[8:9]
	v_cmpx_ne_u32_e32 0, v36
	s_wait_alu 0xfffe
	s_xor_b32 s1, exec_lo, s1
	s_cbranch_execz .LBB0_15
; %bb.14:
	v_add_co_u32 v0, s0, s4, v40
	s_wait_alu 0xf1ff
	v_add_co_ci_u32_e64 v1, s0, s5, v41, s0
	v_add_f64_e32 v[13:14], v[6:7], v[8:9]
	v_add_f64_e64 v[8:9], v[6:7], -v[8:9]
	global_load_b128 v[2:5], v[0:1], off offset:13968
	ds_load_b64 v[0:1], v10 offset:14120
	ds_load_b64 v[11:12], v44 offset:8
	s_wait_dscnt 0x0
	v_add_f64_e32 v[6:7], v[0:1], v[11:12]
	v_add_f64_e64 v[0:1], v[11:12], -v[0:1]
	s_wait_loadcnt 0x0
	v_fma_f64 v[11:12], v[8:9], v[4:5], v[13:14]
	v_fma_f64 v[13:14], -v[8:9], v[4:5], v[13:14]
	s_delay_alu instid0(VALU_DEP_3) | instskip(SKIP_1) | instid1(VALU_DEP_4)
	v_fma_f64 v[15:16], v[6:7], v[4:5], -v[0:1]
	v_fma_f64 v[17:18], v[6:7], v[4:5], v[0:1]
	v_fma_f64 v[0:1], -v[6:7], v[2:3], v[11:12]
	s_delay_alu instid0(VALU_DEP_4) | instskip(NEXT) | instid1(VALU_DEP_4)
	v_fma_f64 v[4:5], v[6:7], v[2:3], v[13:14]
	v_fma_f64 v[6:7], v[8:9], v[2:3], v[15:16]
	s_delay_alu instid0(VALU_DEP_4)
	v_fma_f64 v[2:3], v[8:9], v[2:3], v[17:18]
	ds_store_b128 v10, v[4:7] offset:14112
.LBB0_15:
	s_wait_alu 0xfffe
	s_and_not1_saveexec_b32 s0, s1
	s_cbranch_execz .LBB0_17
; %bb.16:
	v_mov_b32_e32 v8, 0
	ds_load_b128 v[4:7], v8 offset:7056
	s_wait_dscnt 0x0
	v_add_f64_e32 v[4:5], v[4:5], v[4:5]
	v_mul_f64_e32 v[6:7], -2.0, v[6:7]
	ds_store_b128 v8, v[4:7] offset:7056
.LBB0_17:
	s_wait_alu 0xfffe
	s_or_b32 exec_lo, exec_lo, s0
	v_mov_b32_e32 v37, 0
	s_add_nc_u64 s[0:1], s[4:5], 0x3690
	s_mov_b32 s14, 0x523c161c
	s_mov_b32 s15, 0x3fe491b7
	;; [unrolled: 1-line block ×3, first 2 shown]
	v_lshlrev_b64_e32 v[42:43], 4, v[36:37]
	s_mov_b32 s11, 0x3fef838b
	s_mov_b32 s13, 0xbfe491b7
	s_wait_alu 0xfffe
	s_mov_b32 s12, s14
	s_mov_b32 s2, 0xe8584cab
	;; [unrolled: 1-line block ×3, first 2 shown]
	v_add_co_u32 v23, s0, s0, v42
	s_wait_alu 0xf1ff
	v_add_co_ci_u32_e64 v24, s0, s1, v43, s0
	s_mov_b32 s7, 0xbfebb67a
	s_wait_alu 0xfffe
	s_mov_b32 s6, s2
	s_mov_b32 s22, 0xa2cf5039
	s_clause 0x1
	global_load_b128 v[4:7], v[23:24], off offset:1008
	global_load_b128 v[11:14], v[23:24], off offset:2016
	ds_store_b128 v44, v[0:3]
	ds_load_b128 v[0:3], v44 offset:1008
	ds_load_b128 v[15:18], v10 offset:13104
	global_load_b128 v[19:22], v[23:24], off offset:3024
	s_mov_b32 s23, 0x3fe8836f
	s_mov_b32 s20, 0x7e0b738b
	;; [unrolled: 1-line block ×7, first 2 shown]
	v_lshlrev_b32_e32 v37, 7, v36
	s_mov_b32 s1, exec_lo
	s_delay_alu instid0(VALU_DEP_1)
	v_add_nc_u32_e32 v37, v44, v37
	s_wait_dscnt 0x0
	v_add_f64_e32 v[8:9], v[0:1], v[15:16]
	v_add_f64_e32 v[25:26], v[17:18], v[2:3]
	v_add_f64_e64 v[15:16], v[0:1], -v[15:16]
	v_add_f64_e64 v[0:1], v[2:3], -v[17:18]
	s_wait_loadcnt 0x2
	s_delay_alu instid0(VALU_DEP_2) | instskip(NEXT) | instid1(VALU_DEP_2)
	v_fma_f64 v[2:3], v[15:16], v[6:7], v[8:9]
	v_fma_f64 v[17:18], v[25:26], v[6:7], v[0:1]
	v_fma_f64 v[8:9], -v[15:16], v[6:7], v[8:9]
	v_fma_f64 v[27:28], v[25:26], v[6:7], -v[0:1]
	s_delay_alu instid0(VALU_DEP_4) | instskip(NEXT) | instid1(VALU_DEP_4)
	v_fma_f64 v[0:1], -v[25:26], v[4:5], v[2:3]
	v_fma_f64 v[2:3], v[15:16], v[4:5], v[17:18]
	s_delay_alu instid0(VALU_DEP_4) | instskip(NEXT) | instid1(VALU_DEP_4)
	v_fma_f64 v[6:7], v[25:26], v[4:5], v[8:9]
	v_fma_f64 v[8:9], v[15:16], v[4:5], v[27:28]
	ds_store_b128 v44, v[0:3] offset:1008
	ds_store_b128 v10, v[6:9] offset:13104
	ds_load_b128 v[0:3], v44 offset:2016
	ds_load_b128 v[4:7], v10 offset:12096
	global_load_b128 v[15:18], v[23:24], off offset:4032
	s_wait_dscnt 0x0
	v_add_f64_e32 v[8:9], v[0:1], v[4:5]
	v_add_f64_e32 v[25:26], v[6:7], v[2:3]
	v_add_f64_e64 v[27:28], v[0:1], -v[4:5]
	v_add_f64_e64 v[0:1], v[2:3], -v[6:7]
	s_wait_loadcnt 0x2
	s_delay_alu instid0(VALU_DEP_2) | instskip(NEXT) | instid1(VALU_DEP_2)
	v_fma_f64 v[2:3], v[27:28], v[13:14], v[8:9]
	v_fma_f64 v[4:5], v[25:26], v[13:14], v[0:1]
	v_fma_f64 v[6:7], -v[27:28], v[13:14], v[8:9]
	v_fma_f64 v[8:9], v[25:26], v[13:14], -v[0:1]
	s_delay_alu instid0(VALU_DEP_4) | instskip(NEXT) | instid1(VALU_DEP_4)
	v_fma_f64 v[0:1], -v[25:26], v[11:12], v[2:3]
	v_fma_f64 v[2:3], v[27:28], v[11:12], v[4:5]
	s_delay_alu instid0(VALU_DEP_4) | instskip(NEXT) | instid1(VALU_DEP_4)
	v_fma_f64 v[4:5], v[25:26], v[11:12], v[6:7]
	v_fma_f64 v[6:7], v[27:28], v[11:12], v[8:9]
	ds_store_b128 v44, v[0:3] offset:2016
	ds_store_b128 v10, v[4:7] offset:12096
	ds_load_b128 v[0:3], v44 offset:3024
	ds_load_b128 v[4:7], v10 offset:11088
	global_load_b128 v[11:14], v[23:24], off offset:5040
	;; [unrolled: 22-line block ×3, first 2 shown]
	s_wait_dscnt 0x0
	v_add_f64_e32 v[8:9], v[0:1], v[4:5]
	v_add_f64_e32 v[23:24], v[6:7], v[2:3]
	v_add_f64_e64 v[25:26], v[0:1], -v[4:5]
	v_add_f64_e64 v[0:1], v[2:3], -v[6:7]
	s_wait_loadcnt 0x2
	s_delay_alu instid0(VALU_DEP_2) | instskip(NEXT) | instid1(VALU_DEP_2)
	v_fma_f64 v[2:3], v[25:26], v[17:18], v[8:9]
	v_fma_f64 v[4:5], v[23:24], v[17:18], v[0:1]
	v_fma_f64 v[6:7], -v[25:26], v[17:18], v[8:9]
	v_fma_f64 v[8:9], v[23:24], v[17:18], -v[0:1]
	s_delay_alu instid0(VALU_DEP_4) | instskip(NEXT) | instid1(VALU_DEP_4)
	v_fma_f64 v[0:1], -v[23:24], v[15:16], v[2:3]
	v_fma_f64 v[2:3], v[25:26], v[15:16], v[4:5]
	s_delay_alu instid0(VALU_DEP_4) | instskip(NEXT) | instid1(VALU_DEP_4)
	v_fma_f64 v[4:5], v[23:24], v[15:16], v[6:7]
	v_fma_f64 v[6:7], v[25:26], v[15:16], v[8:9]
	ds_store_b128 v44, v[0:3] offset:4032
	ds_store_b128 v10, v[4:7] offset:10080
	ds_load_b128 v[0:3], v44 offset:5040
	ds_load_b128 v[4:7], v10 offset:9072
	s_wait_dscnt 0x0
	v_add_f64_e32 v[8:9], v[0:1], v[4:5]
	v_add_f64_e32 v[15:16], v[6:7], v[2:3]
	v_add_f64_e64 v[17:18], v[0:1], -v[4:5]
	v_add_f64_e64 v[0:1], v[2:3], -v[6:7]
	s_wait_loadcnt 0x1
	s_delay_alu instid0(VALU_DEP_2) | instskip(NEXT) | instid1(VALU_DEP_2)
	v_fma_f64 v[2:3], v[17:18], v[13:14], v[8:9]
	v_fma_f64 v[4:5], v[15:16], v[13:14], v[0:1]
	v_fma_f64 v[6:7], -v[17:18], v[13:14], v[8:9]
	v_fma_f64 v[8:9], v[15:16], v[13:14], -v[0:1]
	s_delay_alu instid0(VALU_DEP_4) | instskip(NEXT) | instid1(VALU_DEP_4)
	v_fma_f64 v[0:1], -v[15:16], v[11:12], v[2:3]
	v_fma_f64 v[2:3], v[17:18], v[11:12], v[4:5]
	s_delay_alu instid0(VALU_DEP_4) | instskip(NEXT) | instid1(VALU_DEP_4)
	v_fma_f64 v[4:5], v[15:16], v[11:12], v[6:7]
	v_fma_f64 v[6:7], v[17:18], v[11:12], v[8:9]
	ds_store_b128 v44, v[0:3] offset:5040
	ds_store_b128 v10, v[4:7] offset:9072
	ds_load_b128 v[0:3], v44 offset:6048
	ds_load_b128 v[4:7], v10 offset:8064
	s_wait_dscnt 0x0
	v_add_f64_e32 v[8:9], v[0:1], v[4:5]
	v_add_f64_e32 v[11:12], v[6:7], v[2:3]
	v_add_f64_e64 v[13:14], v[0:1], -v[4:5]
	v_add_f64_e64 v[0:1], v[2:3], -v[6:7]
	s_wait_loadcnt 0x0
	s_delay_alu instid0(VALU_DEP_2) | instskip(NEXT) | instid1(VALU_DEP_2)
	v_fma_f64 v[2:3], v[13:14], v[21:22], v[8:9]
	v_fma_f64 v[4:5], v[11:12], v[21:22], v[0:1]
	v_fma_f64 v[6:7], -v[13:14], v[21:22], v[8:9]
	v_fma_f64 v[8:9], v[11:12], v[21:22], -v[0:1]
	s_delay_alu instid0(VALU_DEP_4) | instskip(NEXT) | instid1(VALU_DEP_4)
	v_fma_f64 v[0:1], -v[11:12], v[19:20], v[2:3]
	v_fma_f64 v[2:3], v[13:14], v[19:20], v[4:5]
	s_delay_alu instid0(VALU_DEP_4) | instskip(NEXT) | instid1(VALU_DEP_4)
	v_fma_f64 v[4:5], v[11:12], v[19:20], v[6:7]
	v_fma_f64 v[6:7], v[13:14], v[19:20], v[8:9]
	ds_store_b128 v44, v[0:3] offset:6048
	ds_store_b128 v10, v[4:7] offset:8064
	global_wb scope:SCOPE_SE
	s_wait_dscnt 0x0
	s_barrier_signal -1
	s_barrier_wait -1
	global_inv scope:SCOPE_SE
	global_wb scope:SCOPE_SE
	s_barrier_signal -1
	s_barrier_wait -1
	global_inv scope:SCOPE_SE
	ds_load_b128 v[8:11], v44 offset:12544
	ds_load_b128 v[45:48], v44 offset:3136
	;; [unrolled: 1-line block ×16, first 2 shown]
	s_wait_dscnt 0xd
	v_add_f64_e32 v[73:74], v[49:50], v[8:9]
	s_wait_dscnt 0xc
	v_add_f64_e32 v[75:76], v[45:46], v[53:54]
	v_add_f64_e32 v[77:78], v[47:48], v[55:56]
	;; [unrolled: 1-line block ×3, first 2 shown]
	v_add_f64_e64 v[49:50], v[49:50], -v[8:9]
	s_wait_dscnt 0xa
	v_add_f64_e64 v[81:82], v[61:62], -v[57:58]
	v_add_f64_e64 v[53:54], v[45:46], -v[53:54]
	;; [unrolled: 1-line block ×4, first 2 shown]
	s_wait_dscnt 0x2
	v_add_f64_e32 v[83:84], v[69:70], v[65:66]
	v_add_f64_e32 v[85:86], v[71:72], v[67:68]
	v_add_f64_e64 v[47:48], v[69:70], -v[65:66]
	v_add_f64_e64 v[67:68], v[71:72], -v[67:68]
	;; [unrolled: 1-line block ×3, first 2 shown]
	v_add_f64_e32 v[91:92], v[61:62], v[57:58]
	v_add_f64_e32 v[93:94], v[63:64], v[59:60]
	;; [unrolled: 1-line block ×4, first 2 shown]
	v_mul_f64_e32 v[8:9], s[14:15], v[49:50]
	v_mul_f64_e32 v[10:11], s[12:13], v[81:82]
	v_mul_f64_e32 v[45:46], s[10:11], v[81:82]
	v_add_f64_e32 v[65:66], v[83:84], v[87:88]
	v_add_f64_e32 v[87:88], v[91:92], v[87:88]
	v_add_f64_e32 v[69:70], v[85:86], v[89:90]
	v_fma_f64 v[8:9], v[53:54], s[10:11], v[8:9]
	v_fma_f64 v[10:11], v[49:50], s[10:11], v[10:11]
	v_fma_f64 v[45:46], v[53:54], s[12:13], -v[45:46]
	v_add_f64_e32 v[89:90], v[93:94], v[89:90]
	v_add_f64_e32 v[61:62], v[61:62], v[65:66]
	v_mul_f64_e32 v[65:66], s[14:15], v[51:52]
	v_add_f64_e32 v[63:64], v[63:64], v[69:70]
	v_mul_f64_e32 v[69:70], s[12:13], v[71:72]
	v_fma_f64 v[95:96], v[47:48], s[2:3], v[8:9]
	v_mul_f64_e32 v[8:9], s[10:11], v[71:72]
	s_wait_alu 0xfffe
	v_fma_f64 v[97:98], v[47:48], s[6:7], v[10:11]
	v_fma_f64 v[99:100], v[47:48], s[2:3], v[45:46]
	;; [unrolled: 1-line block ×4, first 2 shown]
	v_fma_f64 v[8:9], v[55:56], s[12:13], -v[8:9]
	s_delay_alu instid0(VALU_DEP_4) | instskip(NEXT) | instid1(VALU_DEP_4)
	v_fma_f64 v[99:100], v[49:50], s[18:19], v[99:100]
	v_fma_f64 v[65:66], v[67:68], s[2:3], v[10:11]
	s_delay_alu instid0(VALU_DEP_4) | instskip(NEXT) | instid1(VALU_DEP_4)
	v_fma_f64 v[69:70], v[67:68], s[6:7], v[45:46]
	v_fma_f64 v[67:68], v[67:68], s[2:3], v[8:9]
	ds_load_b128 v[45:48], v44
	ds_load_b128 v[8:11], v44 offset:1008
	global_wb scope:SCOPE_SE
	s_wait_dscnt 0x0
	s_barrier_signal -1
	s_barrier_wait -1
	global_inv scope:SCOPE_SE
	v_fma_f64 v[101:102], v[73:74], s[22:23], v[45:46]
	v_fma_f64 v[103:104], v[75:76], s[22:23], v[45:46]
	;; [unrolled: 1-line block ×10, first 2 shown]
	v_fma_f64 v[101:102], v[83:84], -0.5, v[101:102]
	v_fma_f64 v[103:104], v[83:84], -0.5, v[103:104]
	;; [unrolled: 1-line block ×3, first 2 shown]
	v_add_f64_e32 v[83:84], v[45:46], v[83:84]
	v_fma_f64 v[107:108], v[85:86], -0.5, v[107:108]
	v_fma_f64 v[109:110], v[85:86], -0.5, v[109:110]
	s_delay_alu instid0(VALU_DEP_3) | instskip(SKIP_1) | instid1(VALU_DEP_1)
	v_fma_f64 v[83:84], v[87:88], -0.5, v[83:84]
	v_fma_f64 v[87:88], v[77:78], s[22:23], v[47:48]
	v_fma_f64 v[87:88], v[93:94], s[20:21], v[87:88]
	s_delay_alu instid0(VALU_DEP_1) | instskip(SKIP_1) | instid1(VALU_DEP_1)
	v_fma_f64 v[87:88], v[85:86], -0.5, v[87:88]
	v_add_f64_e32 v[85:86], v[47:48], v[85:86]
	v_fma_f64 v[85:86], v[89:90], -0.5, v[85:86]
	v_fma_f64 v[89:90], v[91:92], s[16:17], v[101:102]
	v_fma_f64 v[91:92], v[81:82], s[18:19], v[95:96]
	v_add_f64_e32 v[81:82], v[81:82], v[49:50]
	v_fma_f64 v[95:96], v[53:54], s[18:19], v[97:98]
	v_fma_f64 v[97:98], v[71:72], s[18:19], v[65:66]
	;; [unrolled: 1-line block ×5, first 2 shown]
	v_add_f64_e32 v[79:80], v[57:58], v[61:62]
	v_add_f64_e32 v[87:88], v[59:60], v[63:64]
	v_add_f64_e64 v[81:82], v[81:82], -v[53:54]
	v_add_f64_e32 v[53:54], v[71:72], v[51:52]
	v_fma_f64 v[71:72], v[55:56], s[18:19], v[69:70]
	v_fma_f64 v[69:70], v[77:78], s[16:17], v[107:108]
	v_add_f64_e32 v[59:60], v[99:100], v[65:66]
	v_add_f64_e32 v[45:46], v[45:46], v[79:80]
	;; [unrolled: 1-line block ×3, first 2 shown]
	v_mul_f64_e32 v[75:76], s[2:3], v[81:82]
	v_add_f64_e64 v[53:54], v[53:54], -v[55:56]
	v_fma_f64 v[55:56], v[73:74], s[16:17], v[103:104]
	v_fma_f64 v[73:74], v[93:94], s[16:17], v[109:110]
	;; [unrolled: 1-line block ×3, first 2 shown]
	v_add_f64_e64 v[61:62], v[67:68], -v[71:72]
	v_add_f64_e32 v[63:64], v[95:96], v[69:70]
	v_mul_f64_e32 v[77:78], s[2:3], v[53:54]
	v_add_f64_e64 v[57:58], v[55:56], -v[101:102]
	v_fma_f64 v[49:50], v[53:54], s[6:7], v[83:84]
	v_add_f64_e64 v[53:54], v[89:90], -v[97:98]
	v_add_f64_e32 v[55:56], v[91:92], v[73:74]
	v_fma_f64 v[67:68], v[75:76], -2.0, v[51:52]
	v_fma_f64 v[75:76], v[99:100], -2.0, v[59:60]
	;; [unrolled: 1-line block ×3, first 2 shown]
	v_fma_f64 v[73:74], v[101:102], 2.0, v[57:58]
	v_fma_f64 v[65:66], v[77:78], 2.0, v[49:50]
	;; [unrolled: 1-line block ×4, first 2 shown]
	v_fma_f64 v[71:72], v[91:92], -2.0, v[55:56]
	ds_store_b128 v37, v[45:48]
	ds_store_b128 v37, v[53:56] offset:16
	ds_store_b128 v37, v[49:52] offset:48
	;; [unrolled: 1-line block ×8, first 2 shown]
	v_cmpx_gt_u32_e32 35, v36
	s_cbranch_execz .LBB0_19
; %bb.18:
	v_add_f64_e64 v[45:46], v[4:5], -v[0:1]
	v_add_f64_e32 v[47:48], v[22:23], v[30:31]
	v_add_f64_e64 v[49:50], v[6:7], -v[2:3]
	v_add_f64_e32 v[51:52], v[20:21], v[28:29]
	v_add_f64_e32 v[53:54], v[6:7], v[2:3]
	;; [unrolled: 1-line block ×3, first 2 shown]
	v_add_f64_e64 v[57:58], v[24:25], -v[32:33]
	v_add_f64_e32 v[59:60], v[26:27], v[34:35]
	v_add_f64_e64 v[26:27], v[26:27], -v[34:35]
	v_add_f64_e32 v[24:25], v[24:25], v[32:33]
	v_add_f64_e64 v[20:21], v[20:21], -v[28:29]
	v_add_f64_e64 v[22:23], v[22:23], -v[30:31]
	v_add_f64_e32 v[77:78], v[14:15], v[18:19]
	v_add_f64_e32 v[79:80], v[12:13], v[16:17]
	v_add_f64_e64 v[12:13], v[12:13], -v[16:17]
	v_add_f64_e64 v[14:15], v[14:15], -v[18:19]
	v_mul_f64_e32 v[28:29], s[10:11], v[45:46]
	v_fma_f64 v[30:31], v[47:48], s[22:23], v[10:11]
	v_mul_f64_e32 v[32:33], s[10:11], v[49:50]
	v_fma_f64 v[34:35], v[51:52], s[22:23], v[8:9]
	;; [unrolled: 2-line block ×6, first 2 shown]
	v_add_f64_e32 v[81:82], v[47:48], v[59:60]
	v_add_f64_e32 v[83:84], v[51:52], v[24:25]
	;; [unrolled: 1-line block ×4, first 2 shown]
	v_fma_f64 v[16:17], v[20:21], s[12:13], -v[28:29]
	v_fma_f64 v[18:19], v[53:54], s[20:21], v[30:31]
	v_fma_f64 v[28:29], v[22:23], s[12:13], -v[32:33]
	v_fma_f64 v[30:31], v[55:56], s[20:21], v[34:35]
	v_fma_f64 v[32:33], v[57:58], s[10:11], v[61:62]
	v_fma_f64 v[34:35], v[59:60], s[20:21], v[63:64]
	v_fma_f64 v[61:62], v[26:27], s[10:11], v[65:66]
	v_fma_f64 v[63:64], v[24:25], s[20:21], v[67:68]
	v_fma_f64 v[65:66], v[20:21], s[10:11], v[69:70]
	v_fma_f64 v[67:68], v[47:48], s[20:21], v[71:72]
	v_fma_f64 v[69:70], v[22:23], s[10:11], v[73:74]
	v_fma_f64 v[71:72], v[51:52], s[20:21], v[75:76]
	v_add_f64_e32 v[89:90], v[77:78], v[81:82]
	v_add_f64_e32 v[91:92], v[79:80], v[83:84]
	;; [unrolled: 1-line block ×6, first 2 shown]
	v_fma_f64 v[16:17], v[12:13], s[2:3], v[16:17]
	v_fma_f64 v[18:19], v[77:78], -0.5, v[18:19]
	v_fma_f64 v[28:29], v[14:15], s[2:3], v[28:29]
	v_fma_f64 v[30:31], v[79:80], -0.5, v[30:31]
	;; [unrolled: 2-line block ×6, first 2 shown]
	v_add_f64_e32 v[6:7], v[6:7], v[89:90]
	v_add_f64_e32 v[4:5], v[4:5], v[91:92]
	v_add_f64_e64 v[69:70], v[73:74], -v[20:21]
	v_add_f64_e64 v[71:72], v[85:86], -v[22:23]
	v_fma_f64 v[73:74], v[81:82], -0.5, v[75:76]
	v_fma_f64 v[75:76], v[83:84], -0.5, v[87:88]
	v_fma_f64 v[57:58], v[57:58], s[18:19], v[16:17]
	v_fma_f64 v[16:17], v[59:60], s[16:17], v[18:19]
	;; [unrolled: 1-line block ×12, first 2 shown]
	v_add_f64_e32 v[51:52], v[2:3], v[6:7]
	v_add_f64_e32 v[53:54], v[0:1], v[4:5]
	v_mul_f64_e32 v[47:48], s[2:3], v[69:70]
	v_mul_f64_e32 v[49:50], s[2:3], v[71:72]
	v_fma_f64 v[2:3], v[69:70], s[2:3], v[73:74]
	v_fma_f64 v[0:1], v[71:72], s[6:7], v[75:76]
	v_add_f64_e32 v[6:7], v[57:58], v[16:17]
	v_add_f64_e64 v[4:5], v[18:19], -v[28:29]
	v_add_f64_e32 v[14:15], v[30:31], v[20:21]
	v_add_f64_e64 v[12:13], v[22:23], -v[32:33]
	;; [unrolled: 2-line block ×3, first 2 shown]
	v_add_f64_e32 v[10:11], v[10:11], v[51:52]
	v_add_f64_e32 v[8:9], v[8:9], v[53:54]
	v_fma_f64 v[22:23], v[47:48], -2.0, v[2:3]
	v_fma_f64 v[20:21], v[49:50], 2.0, v[0:1]
	v_fma_f64 v[26:27], v[57:58], -2.0, v[6:7]
	v_fma_f64 v[24:25], v[28:29], 2.0, v[4:5]
	;; [unrolled: 2-line block ×4, first 2 shown]
	ds_store_b128 v37, v[8:11] offset:9072
	ds_store_b128 v37, v[16:19] offset:9088
	;; [unrolled: 1-line block ×9, first 2 shown]
.LBB0_19:
	s_or_b32 exec_lo, exec_lo, s1
	v_and_b32_e32 v0, 0xff, v36
	v_add_nc_u16 v1, v36, 63
	global_wb scope:SCOPE_SE
	s_wait_dscnt 0x0
	s_barrier_signal -1
	s_barrier_wait -1
	v_mul_lo_u16 v0, v0, 57
	v_and_b32_e32 v4, 0xff, v1
	global_inv scope:SCOPE_SE
	s_mov_b32 s12, 0xe976ee23
	s_mov_b32 s0, 0x429ad128
	v_lshrrev_b16 v2, 9, v0
	s_mov_b32 s14, 0x37e14327
	s_mov_b32 s13, 0x3fe11646
	;; [unrolled: 1-line block ×4, first 2 shown]
	v_mul_lo_u16 v0, v2, 9
	s_mov_b32 s10, 0x36b3c0b5
	s_mov_b32 s11, 0x3fac98ee
	s_mov_b32 s6, 0xb247c609
	s_mov_b32 s20, 0xaaaaaaaa
	v_sub_nc_u16 v0, v36, v0
	s_mov_b32 s7, 0xbfd5d0dc
	s_mov_b32 s3, 0x3fd5d0dc
	;; [unrolled: 1-line block ×4, first 2 shown]
	v_and_b32_e32 v0, 0xff, v0
	s_wait_alu 0xfffe
	s_mov_b32 s2, s6
	s_mov_b32 s17, 0x3fe77f67
	;; [unrolled: 1-line block ×4, first 2 shown]
	v_mul_u32_u24_e32 v3, 6, v0
	s_mov_b32 s22, 0x37c3f68c
	s_mov_b32 s23, 0xbfdc38aa
	v_and_b32_e32 v2, 0xffff, v2
	v_lshlrev_b32_e32 v0, 4, v0
	v_lshlrev_b32_e32 v37, 4, v3
	v_mul_lo_u16 v3, v4, 57
	s_delay_alu instid0(VALU_DEP_4)
	v_mul_u32_u24_e32 v2, 0x3f0, v2
	s_clause 0x1
	global_load_b128 v[4:7], v37, s[4:5]
	global_load_b128 v[8:11], v37, s[4:5] offset:16
	v_lshrrev_b16 v3, 9, v3
	v_add3_u32 v0, 0, v2, v0
	global_load_b128 v[16:19], v37, s[4:5] offset:80
	v_mul_lo_u16 v12, v3, 9
	v_and_b32_e32 v3, 0xffff, v3
	s_delay_alu instid0(VALU_DEP_2) | instskip(SKIP_3) | instid1(VALU_DEP_1)
	v_sub_nc_u16 v1, v1, v12
	global_load_b128 v[12:15], v37, s[4:5] offset:64
	v_mul_u32_u24_e32 v3, 0x3f0, v3
	v_and_b32_e32 v1, 0xff, v1
	v_mul_u32_u24_e32 v20, 6, v1
	v_lshlrev_b32_e32 v1, 4, v1
	s_delay_alu instid0(VALU_DEP_2) | instskip(NEXT) | instid1(VALU_DEP_2)
	v_lshlrev_b32_e32 v57, 4, v20
	v_add3_u32 v1, 0, v3, v1
	s_clause 0x7
	global_load_b128 v[20:23], v57, s[4:5]
	global_load_b128 v[24:27], v57, s[4:5] offset:16
	global_load_b128 v[28:31], v57, s[4:5] offset:80
	;; [unrolled: 1-line block ×7, first 2 shown]
	ds_load_b128 v[61:64], v44 offset:2016
	ds_load_b128 v[65:68], v44 offset:4032
	;; [unrolled: 1-line block ×9, first 2 shown]
	v_mul_u32_u24_e32 v37, 6, v36
	s_delay_alu instid0(VALU_DEP_1)
	v_lshlrev_b32_e32 v37, 4, v37
	s_wait_loadcnt_dscnt 0xb08
	v_mul_f64_e32 v[97:98], v[63:64], v[6:7]
	s_wait_loadcnt_dscnt 0xa07
	v_mul_f64_e32 v[99:100], v[67:68], v[10:11]
	v_mul_f64_e32 v[6:7], v[61:62], v[6:7]
	;; [unrolled: 1-line block ×3, first 2 shown]
	s_wait_loadcnt_dscnt 0x904
	v_mul_f64_e32 v[103:104], v[79:80], v[18:19]
	v_mul_f64_e32 v[18:19], v[77:78], v[18:19]
	s_wait_loadcnt 0x8
	v_mul_f64_e32 v[101:102], v[71:72], v[14:15]
	v_mul_f64_e32 v[14:15], v[69:70], v[14:15]
	s_wait_loadcnt 0x7
	v_mul_f64_e32 v[105:106], v[75:76], v[22:23]
	v_mul_f64_e32 v[22:23], v[73:74], v[22:23]
	s_wait_loadcnt_dscnt 0x402
	v_mul_f64_e32 v[107:108], v[87:88], v[34:35]
	v_mul_f64_e32 v[34:35], v[85:86], v[34:35]
	v_fma_f64 v[61:62], v[61:62], v[4:5], v[97:98]
	v_mul_f64_e32 v[97:98], v[83:84], v[26:27]
	v_mul_f64_e32 v[26:27], v[81:82], v[26:27]
	v_fma_f64 v[65:66], v[65:66], v[8:9], v[99:100]
	s_wait_dscnt 0x1
	v_mul_f64_e32 v[99:100], v[91:92], v[30:31]
	v_mul_f64_e32 v[30:31], v[89:90], v[30:31]
	v_fma_f64 v[63:64], v[63:64], v[4:5], -v[6:7]
	ds_load_b128 v[4:7], v44 offset:6048
	v_fma_f64 v[67:68], v[67:68], v[8:9], -v[10:11]
	v_fma_f64 v[77:78], v[77:78], v[16:17], v[103:104]
	v_fma_f64 v[16:17], v[79:80], v[16:17], -v[18:19]
	s_wait_loadcnt_dscnt 0x201
	v_mul_f64_e32 v[79:80], v[95:96], v[51:52]
	v_mul_f64_e32 v[51:52], v[93:94], v[51:52]
	v_fma_f64 v[69:70], v[69:70], v[12:13], v[101:102]
	v_fma_f64 v[71:72], v[71:72], v[12:13], -v[14:15]
	ds_load_b128 v[8:11], v44 offset:7056
	ds_load_b128 v[12:15], v44 offset:9072
	v_fma_f64 v[73:74], v[73:74], v[20:21], v[105:106]
	v_fma_f64 v[20:21], v[75:76], v[20:21], -v[22:23]
	s_wait_dscnt 0x2
	v_mul_f64_e32 v[18:19], v[6:7], v[47:48]
	v_mul_f64_e32 v[47:48], v[4:5], v[47:48]
	s_wait_loadcnt_dscnt 0x101
	v_mul_f64_e32 v[22:23], v[10:11], v[55:56]
	s_wait_loadcnt_dscnt 0x0
	v_mul_f64_e32 v[75:76], v[14:15], v[59:60]
	v_mul_f64_e32 v[55:56], v[8:9], v[55:56]
	;; [unrolled: 1-line block ×3, first 2 shown]
	v_fma_f64 v[81:82], v[81:82], v[24:25], v[97:98]
	v_fma_f64 v[24:25], v[83:84], v[24:25], -v[26:27]
	v_fma_f64 v[26:27], v[89:90], v[28:29], v[99:100]
	v_fma_f64 v[28:29], v[91:92], v[28:29], -v[30:31]
	;; [unrolled: 2-line block ×3, first 2 shown]
	v_fma_f64 v[34:35], v[95:96], v[49:50], -v[51:52]
	v_add_f64_e32 v[51:52], v[67:68], v[71:72]
	v_fma_f64 v[4:5], v[4:5], v[45:46], v[18:19]
	v_fma_f64 v[18:19], v[93:94], v[49:50], v[79:80]
	v_fma_f64 v[6:7], v[6:7], v[45:46], -v[47:48]
	v_add_f64_e32 v[45:46], v[61:62], v[77:78]
	v_add_f64_e32 v[47:48], v[63:64], v[16:17]
	;; [unrolled: 1-line block ×3, first 2 shown]
	v_add_f64_e64 v[61:62], v[61:62], -v[77:78]
	v_fma_f64 v[8:9], v[8:9], v[53:54], v[22:23]
	v_fma_f64 v[12:13], v[12:13], v[57:58], v[75:76]
	v_fma_f64 v[10:11], v[10:11], v[53:54], -v[55:56]
	v_fma_f64 v[14:15], v[14:15], v[57:58], -v[59:60]
	v_add_f64_e64 v[59:60], v[65:66], -v[69:70]
	v_add_f64_e64 v[65:66], v[67:68], -v[71:72]
	;; [unrolled: 1-line block ×3, first 2 shown]
	v_add_f64_e32 v[22:23], v[73:74], v[26:27]
	v_add_f64_e32 v[53:54], v[20:21], v[28:29]
	;; [unrolled: 1-line block ×4, first 2 shown]
	v_add_f64_e64 v[30:31], v[81:82], -v[30:31]
	v_add_f64_e64 v[24:25], v[24:25], -v[32:33]
	;; [unrolled: 1-line block ×6, first 2 shown]
	v_add_f64_e32 v[18:19], v[4:5], v[18:19]
	v_add_f64_e32 v[34:35], v[6:7], v[34:35]
	;; [unrolled: 1-line block ×4, first 2 shown]
	v_add_f64_e64 v[75:76], v[12:13], -v[8:9]
	v_add_f64_e32 v[12:13], v[8:9], v[12:13]
	v_add_f64_e64 v[32:33], v[14:15], -v[10:11]
	v_add_f64_e32 v[14:15], v[10:11], v[14:15]
	v_add_f64_e64 v[79:80], v[59:60], -v[61:62]
	v_add_f64_e64 v[83:84], v[65:66], -v[16:17]
	ds_load_b128 v[4:7], v44
	ds_load_b128 v[8:11], v44 offset:1008
	global_wb scope:SCOPE_SE
	s_wait_dscnt 0x0
	s_barrier_signal -1
	v_add_f64_e32 v[28:29], v[55:56], v[22:23]
	v_add_f64_e32 v[73:74], v[57:58], v[53:54]
	s_barrier_wait -1
	global_inv scope:SCOPE_SE
	v_add_f64_e64 v[95:96], v[24:25], -v[20:21]
	v_add_f64_e64 v[77:78], v[67:68], -v[59:60]
	;; [unrolled: 1-line block ×7, first 2 shown]
	v_add_f64_e32 v[18:19], v[18:19], v[63:64]
	v_add_f64_e32 v[34:35], v[34:35], v[71:72]
	v_add_f64_e64 v[63:64], v[75:76], -v[30:31]
	v_add_f64_e64 v[71:72], v[30:31], -v[26:27]
	;; [unrolled: 1-line block ×6, first 2 shown]
	v_add_f64_e32 v[49:50], v[67:68], v[59:60]
	v_add_f64_e32 v[59:60], v[69:70], v[65:66]
	;; [unrolled: 1-line block ×4, first 2 shown]
	v_add_f64_e64 v[12:13], v[12:13], -v[55:56]
	v_add_f64_e64 v[14:15], v[14:15], -v[57:58]
	v_add_f64_e32 v[30:31], v[75:76], v[30:31]
	v_add_f64_e32 v[24:25], v[32:33], v[24:25]
	v_add_f64_e64 v[67:68], v[61:62], -v[67:68]
	v_add_f64_e64 v[69:70], v[16:17], -v[69:70]
	v_mul_f64_e32 v[101:102], s[0:1], v[83:84]
	v_add_f64_e64 v[47:48], v[51:52], -v[47:48]
	v_add_f64_e64 v[75:76], v[26:27], -v[75:76]
	;; [unrolled: 1-line block ×4, first 2 shown]
	v_mul_f64_e32 v[55:56], s[0:1], v[95:96]
	v_add_f64_e64 v[53:54], v[57:58], -v[53:54]
	v_mul_f64_e32 v[65:66], s[12:13], v[77:78]
	v_mul_f64_e32 v[77:78], s[0:1], v[79:80]
	;; [unrolled: 1-line block ×6, first 2 shown]
	v_add_f64_e32 v[4:5], v[4:5], v[18:19]
	v_add_f64_e32 v[6:7], v[6:7], v[34:35]
	v_mul_f64_e32 v[89:90], s[10:11], v[91:92]
	v_mul_f64_e32 v[63:64], s[12:13], v[63:64]
	;; [unrolled: 1-line block ×6, first 2 shown]
	v_add_f64_e32 v[49:50], v[49:50], v[61:62]
	v_add_f64_e32 v[16:17], v[59:60], v[16:17]
	;; [unrolled: 1-line block ×4, first 2 shown]
	v_mul_f64_e32 v[57:58], s[10:11], v[12:13]
	v_mul_f64_e32 v[107:108], s[10:11], v[14:15]
	v_add_f64_e32 v[26:27], v[30:31], v[26:27]
	v_add_f64_e32 v[20:21], v[24:25], v[20:21]
	v_fma_f64 v[24:25], v[79:80], s[0:1], -v[65:66]
	v_fma_f64 v[30:31], v[67:68], s[6:7], v[65:66]
	s_wait_alu 0xfffe
	v_fma_f64 v[59:60], v[67:68], s[2:3], -v[77:78]
	v_fma_f64 v[61:62], v[83:84], s[0:1], -v[81:82]
	v_fma_f64 v[65:66], v[69:70], s[6:7], v[81:82]
	v_fma_f64 v[67:68], v[69:70], s[2:3], -v[101:102]
	v_fma_f64 v[69:70], v[87:88], s[10:11], v[85:86]
	v_fma_f64 v[79:80], v[91:92], s[10:11], v[51:52]
	;; [unrolled: 1-line block ×4, first 2 shown]
	v_fma_f64 v[77:78], v[45:46], s[16:17], -v[103:104]
	v_fma_f64 v[45:46], v[45:46], s[18:19], -v[85:86]
	;; [unrolled: 1-line block ×5, first 2 shown]
	v_fma_f64 v[63:64], v[75:76], s[6:7], v[63:64]
	v_fma_f64 v[71:72], v[75:76], s[2:3], -v[105:106]
	v_fma_f64 v[75:76], v[32:33], s[6:7], v[93:94]
	v_fma_f64 v[83:84], v[95:96], s[0:1], -v[93:94]
	v_fma_f64 v[32:33], v[32:33], s[2:3], -v[55:56]
	v_fma_f64 v[12:13], v[12:13], s[10:11], v[97:98]
	v_fma_f64 v[14:15], v[14:15], s[10:11], v[99:100]
	;; [unrolled: 1-line block ×4, first 2 shown]
	v_fma_f64 v[73:74], v[22:23], s[18:19], -v[97:98]
	v_fma_f64 v[85:86], v[53:54], s[18:19], -v[99:100]
	;; [unrolled: 1-line block ×4, first 2 shown]
	v_fma_f64 v[57:58], v[49:50], s[22:23], v[30:31]
	v_fma_f64 v[30:31], v[49:50], s[22:23], v[24:25]
	v_fma_f64 v[24:25], v[16:17], s[22:23], v[61:62]
	v_fma_f64 v[65:66], v[16:17], s[22:23], v[65:66]
	v_fma_f64 v[49:50], v[49:50], s[22:23], v[59:60]
	v_fma_f64 v[59:60], v[16:17], s[22:23], v[67:68]
	v_add_f64_e32 v[61:62], v[69:70], v[18:19]
	v_add_f64_e32 v[67:68], v[79:80], v[34:35]
	;; [unrolled: 1-line block ×6, first 2 shown]
	v_fma_f64 v[77:78], v[26:27], s[22:23], v[63:64]
	v_fma_f64 v[71:72], v[26:27], s[22:23], v[71:72]
	;; [unrolled: 1-line block ×6, first 2 shown]
	v_add_f64_e32 v[83:84], v[12:13], v[28:29]
	v_add_f64_e32 v[87:88], v[14:15], v[55:56]
	;; [unrolled: 1-line block ×7, first 2 shown]
	v_add_f64_e64 v[14:15], v[67:68], -v[57:58]
	v_add_f64_e64 v[20:21], v[69:70], -v[24:25]
	v_add_f64_e32 v[16:17], v[59:60], v[45:46]
	v_add_f64_e32 v[24:25], v[24:25], v[69:70]
	v_add_f64_e64 v[18:19], v[47:48], -v[49:50]
	v_add_f64_e32 v[22:23], v[30:31], v[34:35]
	v_add_f64_e64 v[26:27], v[34:35], -v[30:31]
	v_add_f64_e64 v[28:29], v[45:46], -v[59:60]
	v_add_f64_e32 v[30:31], v[49:50], v[47:48]
	v_add_f64_e64 v[32:33], v[61:62], -v[65:66]
	v_add_f64_e32 v[34:35], v[57:58], v[67:68]
	v_add_f64_e32 v[45:46], v[75:76], v[83:84]
	v_add_f64_e64 v[47:48], v[87:88], -v[77:78]
	v_add_f64_e32 v[49:50], v[81:82], v[73:74]
	v_add_f64_e64 v[51:52], v[85:86], -v[71:72]
	v_add_f64_e64 v[53:54], v[89:90], -v[79:80]
	v_add_f64_e32 v[55:56], v[63:64], v[91:92]
	v_add_f64_e32 v[57:58], v[79:80], v[89:90]
	v_add_f64_e64 v[59:60], v[91:92], -v[63:64]
	v_add_f64_e64 v[61:62], v[73:74], -v[81:82]
	v_add_f64_e32 v[63:64], v[71:72], v[85:86]
	v_add_f64_e64 v[65:66], v[83:84], -v[75:76]
	v_add_f64_e32 v[67:68], v[77:78], v[87:88]
	ds_store_b128 v0, v[4:7]
	ds_store_b128 v0, v[12:15] offset:144
	ds_store_b128 v0, v[16:19] offset:288
	;; [unrolled: 1-line block ×6, first 2 shown]
	ds_store_b128 v1, v[8:11]
	ds_store_b128 v1, v[45:48] offset:144
	ds_store_b128 v1, v[49:52] offset:288
	;; [unrolled: 1-line block ×6, first 2 shown]
	global_wb scope:SCOPE_SE
	s_wait_dscnt 0x0
	s_barrier_signal -1
	s_barrier_wait -1
	global_inv scope:SCOPE_SE
	s_clause 0x5
	global_load_b128 v[0:3], v37, s[4:5] offset:864
	global_load_b128 v[4:7], v37, s[4:5] offset:880
	;; [unrolled: 1-line block ×6, first 2 shown]
	ds_load_b128 v[24:27], v44 offset:2016
	ds_load_b128 v[28:31], v44 offset:4032
	;; [unrolled: 1-line block ×12, first 2 shown]
	s_wait_loadcnt_dscnt 0x50b
	v_mul_f64_e32 v[81:82], v[26:27], v[2:3]
	v_mul_f64_e32 v[83:84], v[24:25], v[2:3]
	s_wait_loadcnt_dscnt 0x40a
	v_mul_f64_e32 v[85:86], v[30:31], v[6:7]
	v_mul_f64_e32 v[87:88], v[28:29], v[6:7]
	;; [unrolled: 3-line block ×4, first 2 shown]
	s_wait_dscnt 0x7
	v_mul_f64_e32 v[97:98], v[51:52], v[2:3]
	v_mul_f64_e32 v[2:3], v[49:50], v[2:3]
	s_wait_dscnt 0x6
	v_mul_f64_e32 v[99:100], v[55:56], v[6:7]
	v_mul_f64_e32 v[6:7], v[53:54], v[6:7]
	;; [unrolled: 3-line block ×4, first 2 shown]
	s_wait_loadcnt_dscnt 0x102
	v_mul_f64_e32 v[105:106], v[71:72], v[18:19]
	s_wait_loadcnt 0x0
	v_mul_f64_e32 v[107:108], v[67:68], v[22:23]
	v_fma_f64 v[24:25], v[24:25], v[0:1], v[81:82]
	v_fma_f64 v[26:27], v[26:27], v[0:1], -v[83:84]
	v_mul_f64_e32 v[81:82], v[69:70], v[18:19]
	v_mul_f64_e32 v[83:84], v[65:66], v[22:23]
	v_fma_f64 v[28:29], v[28:29], v[4:5], v[85:86]
	v_fma_f64 v[30:31], v[30:31], v[4:5], -v[87:88]
	v_fma_f64 v[32:33], v[32:33], v[8:9], v[89:90]
	v_fma_f64 v[34:35], v[34:35], v[8:9], -v[91:92]
	;; [unrolled: 2-line block ×3, first 2 shown]
	s_wait_dscnt 0x1
	v_mul_f64_e32 v[85:86], v[75:76], v[18:19]
	v_mul_f64_e32 v[18:19], v[73:74], v[18:19]
	s_wait_dscnt 0x0
	v_mul_f64_e32 v[87:88], v[79:80], v[22:23]
	v_mul_f64_e32 v[22:23], v[77:78], v[22:23]
	v_fma_f64 v[49:50], v[49:50], v[0:1], v[97:98]
	v_fma_f64 v[0:1], v[51:52], v[0:1], -v[2:3]
	v_fma_f64 v[2:3], v[53:54], v[4:5], v[99:100]
	v_fma_f64 v[4:5], v[55:56], v[4:5], -v[6:7]
	;; [unrolled: 2-line block ×4, first 2 shown]
	v_fma_f64 v[14:15], v[69:70], v[16:17], v[105:106]
	v_fma_f64 v[51:52], v[65:66], v[20:21], v[107:108]
	v_fma_f64 v[53:54], v[71:72], v[16:17], -v[81:82]
	v_fma_f64 v[55:56], v[67:68], v[20:21], -v[83:84]
	v_add_f64_e32 v[57:58], v[24:25], v[32:33]
	v_add_f64_e32 v[59:60], v[26:27], v[34:35]
	;; [unrolled: 1-line block ×4, first 2 shown]
	v_fma_f64 v[65:66], v[73:74], v[16:17], v[85:86]
	v_fma_f64 v[16:17], v[75:76], v[16:17], -v[18:19]
	v_fma_f64 v[67:68], v[77:78], v[20:21], v[87:88]
	v_fma_f64 v[18:19], v[79:80], v[20:21], -v[22:23]
	v_add_f64_e64 v[28:29], v[28:29], -v[45:46]
	v_add_f64_e64 v[24:25], v[24:25], -v[32:33]
	;; [unrolled: 1-line block ×4, first 2 shown]
	v_add_f64_e32 v[20:21], v[49:50], v[6:7]
	v_add_f64_e32 v[22:23], v[0:1], v[8:9]
	;; [unrolled: 1-line block ×4, first 2 shown]
	v_add_f64_e64 v[10:11], v[2:3], -v[10:11]
	v_add_f64_e64 v[45:46], v[51:52], -v[14:15]
	v_add_f64_e32 v[14:15], v[14:15], v[51:52]
	v_add_f64_e64 v[12:13], v[4:5], -v[12:13]
	v_add_f64_e64 v[49:50], v[49:50], -v[6:7]
	;; [unrolled: 1-line block ×4, first 2 shown]
	v_add_f64_e32 v[34:35], v[53:54], v[55:56]
	v_add_f64_e32 v[47:48], v[61:62], v[57:58]
	;; [unrolled: 1-line block ×3, first 2 shown]
	v_add_f64_e64 v[53:54], v[67:68], -v[65:66]
	v_add_f64_e64 v[55:56], v[18:19], -v[16:17]
	v_add_f64_e32 v[2:3], v[65:66], v[67:68]
	v_add_f64_e32 v[4:5], v[16:17], v[18:19]
	v_add_f64_e64 v[18:19], v[28:29], -v[24:25]
	v_add_f64_e64 v[67:68], v[30:31], -v[26:27]
	v_add_f64_e32 v[0:1], v[69:70], v[20:21]
	v_add_f64_e32 v[6:7], v[71:72], v[22:23]
	v_add_f64_e64 v[16:17], v[45:46], -v[28:29]
	v_add_f64_e64 v[73:74], v[57:58], -v[14:15]
	v_add_f64_e64 v[75:76], v[14:15], -v[61:62]
	v_add_f64_e64 v[79:80], v[10:11], -v[49:50]
	v_add_f64_e64 v[87:88], v[12:13], -v[8:9]
	v_add_f64_e32 v[28:29], v[45:46], v[28:29]
	v_add_f64_e64 v[57:58], v[61:62], -v[57:58]
	v_add_f64_e64 v[45:46], v[24:25], -v[45:46]
	;; [unrolled: 1-line block ×4, first 2 shown]
	v_add_f64_e32 v[30:31], v[32:33], v[30:31]
	v_add_f64_e64 v[32:33], v[26:27], -v[32:33]
	v_add_f64_e64 v[59:60], v[63:64], -v[59:60]
	v_add_f64_e32 v[14:15], v[14:15], v[47:48]
	v_add_f64_e32 v[47:48], v[34:35], v[51:52]
	v_add_f64_e64 v[34:35], v[34:35], -v[63:64]
	v_add_f64_e64 v[51:52], v[53:54], -v[10:11]
	;; [unrolled: 1-line block ×7, first 2 shown]
	v_add_f64_e32 v[12:13], v[55:56], v[12:13]
	v_mul_f64_e32 v[61:62], s[0:1], v[18:19]
	v_add_f64_e32 v[89:90], v[2:3], v[0:1]
	v_add_f64_e32 v[91:92], v[4:5], v[6:7]
	ds_load_b128 v[0:3], v44
	ds_load_b128 v[4:7], v44 offset:1008
	v_mul_f64_e32 v[16:17], s[12:13], v[16:17]
	v_mul_f64_e32 v[97:98], s[0:1], v[67:68]
	;; [unrolled: 1-line block ×3, first 2 shown]
	v_add_f64_e32 v[10:11], v[53:54], v[10:11]
	v_mul_f64_e32 v[99:100], s[10:11], v[75:76]
	v_add_f64_e64 v[53:54], v[49:50], -v[53:54]
	v_add_f64_e64 v[55:56], v[8:9], -v[55:56]
	v_mul_f64_e32 v[101:102], s[0:1], v[79:80]
	v_mul_f64_e32 v[103:104], s[0:1], v[87:88]
	v_add_f64_e64 v[20:21], v[69:70], -v[20:21]
	v_add_f64_e64 v[22:23], v[71:72], -v[22:23]
	v_add_f64_e32 v[24:25], v[28:29], v[24:25]
	global_wb scope:SCOPE_SE
	s_wait_dscnt 0x0
	s_barrier_signal -1
	s_barrier_wait -1
	global_inv scope:SCOPE_SE
	v_mul_f64_e32 v[65:66], s[12:13], v[65:66]
	v_mul_f64_e32 v[63:64], s[14:15], v[77:78]
	v_add_f64_e32 v[26:27], v[30:31], v[26:27]
	v_add_f64_e32 v[0:1], v[0:1], v[14:15]
	;; [unrolled: 1-line block ×3, first 2 shown]
	v_mul_f64_e32 v[77:78], s[10:11], v[34:35]
	v_mul_f64_e32 v[51:52], s[12:13], v[51:52]
	;; [unrolled: 1-line block ×7, first 2 shown]
	v_add_f64_e32 v[8:9], v[12:13], v[8:9]
	v_add_f64_e32 v[4:5], v[4:5], v[89:90]
	;; [unrolled: 1-line block ×3, first 2 shown]
	v_fma_f64 v[12:13], v[18:19], s[0:1], -v[16:17]
	v_fma_f64 v[16:17], v[45:46], s[6:7], v[16:17]
	v_fma_f64 v[18:19], v[45:46], s[2:3], -v[61:62]
	v_fma_f64 v[45:46], v[75:76], s[10:11], v[73:74]
	v_add_f64_e32 v[10:11], v[10:11], v[49:50]
	v_fma_f64 v[49:50], v[57:58], s[16:17], -v[99:100]
	v_fma_f64 v[57:58], v[57:58], s[18:19], -v[73:74]
	v_fma_f64 v[30:31], v[32:33], s[6:7], v[65:66]
	v_fma_f64 v[32:33], v[32:33], s[2:3], -v[97:98]
	v_fma_f64 v[34:35], v[34:35], s[10:11], v[63:64]
	;; [unrolled: 2-line block ×3, first 2 shown]
	v_fma_f64 v[47:48], v[47:48], s[20:21], v[2:3]
	v_fma_f64 v[61:62], v[59:60], s[16:17], -v[77:78]
	v_fma_f64 v[59:60], v[59:60], s[18:19], -v[63:64]
	;; [unrolled: 1-line block ×3, first 2 shown]
	v_fma_f64 v[51:52], v[53:54], s[6:7], v[51:52]
	v_fma_f64 v[65:66], v[55:56], s[6:7], v[81:82]
	v_fma_f64 v[67:68], v[87:88], s[0:1], -v[81:82]
	v_fma_f64 v[73:74], v[93:94], s[10:11], v[83:84]
	v_fma_f64 v[75:76], v[95:96], s[10:11], v[85:86]
	v_fma_f64 v[53:54], v[53:54], s[2:3], -v[101:102]
	v_fma_f64 v[55:56], v[55:56], s[2:3], -v[103:104]
	v_fma_f64 v[77:78], v[89:90], s[20:21], v[4:5]
	v_fma_f64 v[79:80], v[91:92], s[20:21], v[6:7]
	v_fma_f64 v[81:82], v[20:21], s[18:19], -v[83:84]
	v_fma_f64 v[83:84], v[22:23], s[18:19], -v[85:86]
	;; [unrolled: 1-line block ×4, first 2 shown]
	v_fma_f64 v[69:70], v[24:25], s[22:23], v[16:17]
	v_fma_f64 v[71:72], v[24:25], s[22:23], v[12:13]
	;; [unrolled: 1-line block ×3, first 2 shown]
	v_add_co_u32 v40, s0, s4, v40
	s_wait_alu 0xf1ff
	v_add_co_ci_u32_e64 v41, s0, s5, v41, s0
	v_add_co_u32 v42, s0, s4, v42
	s_wait_alu 0xf1ff
	v_add_co_ci_u32_e64 v43, s0, s5, v43, s0
	v_fma_f64 v[30:31], v[26:27], s[22:23], v[30:31]
	v_fma_f64 v[24:25], v[26:27], s[22:23], v[32:33]
	;; [unrolled: 1-line block ×3, first 2 shown]
	v_add_f64_e32 v[32:33], v[45:46], v[14:15]
	v_add_f64_e32 v[34:35], v[34:35], v[47:48]
	v_add_f64_e32 v[26:27], v[57:58], v[14:15]
	v_add_f64_e32 v[45:46], v[59:60], v[47:48]
	v_add_f64_e32 v[49:50], v[49:50], v[14:15]
	v_add_f64_e32 v[47:48], v[61:62], v[47:48]
	v_fma_f64 v[87:88], v[10:11], s[22:23], v[51:52]
	v_fma_f64 v[61:62], v[8:9], s[22:23], v[65:66]
	;; [unrolled: 1-line block ×6, first 2 shown]
	v_add_f64_e32 v[67:68], v[73:74], v[77:78]
	v_add_f64_e32 v[73:74], v[75:76], v[79:80]
	;; [unrolled: 1-line block ×7, first 2 shown]
	v_add_f64_e64 v[10:11], v[34:35], -v[69:70]
	v_add_f64_e32 v[12:13], v[24:25], v[26:27]
	v_add_f64_e64 v[14:15], v[45:46], -v[85:86]
	v_add_f64_e64 v[16:17], v[49:50], -v[28:29]
	v_add_f64_e32 v[18:19], v[71:72], v[47:48]
	v_add_f64_e32 v[20:21], v[28:29], v[49:50]
	v_add_f64_e64 v[22:23], v[47:48], -v[71:72]
	v_add_f64_e64 v[24:25], v[26:27], -v[24:25]
	v_add_f64_e32 v[26:27], v[85:86], v[45:46]
	v_add_f64_e64 v[28:29], v[32:33], -v[30:31]
	v_add_f64_e32 v[30:31], v[69:70], v[34:35]
	v_add_f64_e32 v[32:33], v[61:62], v[67:68]
	v_add_f64_e64 v[34:35], v[73:74], -v[87:88]
	v_add_f64_e32 v[45:46], v[65:66], v[75:76]
	v_add_f64_e64 v[47:48], v[81:82], -v[63:64]
	v_add_f64_e64 v[49:50], v[53:54], -v[59:60]
	v_add_f64_e32 v[51:52], v[57:58], v[55:56]
	v_add_f64_e32 v[53:54], v[59:60], v[53:54]
	v_add_f64_e64 v[55:56], v[55:56], -v[57:58]
	v_add_f64_e64 v[57:58], v[75:76], -v[65:66]
	v_add_f64_e32 v[59:60], v[63:64], v[81:82]
	v_add_f64_e64 v[61:62], v[67:68], -v[61:62]
	v_add_f64_e32 v[63:64], v[87:88], v[73:74]
	ds_store_b128 v44, v[0:3]
	ds_store_b128 v44, v[8:11] offset:1008
	ds_store_b128 v44, v[12:15] offset:2016
	;; [unrolled: 1-line block ×13, first 2 shown]
	global_wb scope:SCOPE_SE
	s_wait_dscnt 0x0
	s_barrier_signal -1
	s_barrier_wait -1
	global_inv scope:SCOPE_SE
	s_clause 0x6
	global_load_b128 v[0:3], v[40:41], off offset:6912
	global_load_b128 v[4:7], v[42:43], off offset:7920
	;; [unrolled: 1-line block ×7, first 2 shown]
	ds_load_b128 v[28:31], v44 offset:7056
	ds_load_b128 v[32:35], v44 offset:8064
	;; [unrolled: 1-line block ×8, first 2 shown]
	s_wait_loadcnt_dscnt 0x607
	v_mul_f64_e32 v[65:66], v[30:31], v[2:3]
	v_mul_f64_e32 v[2:3], v[28:29], v[2:3]
	s_wait_loadcnt_dscnt 0x506
	v_mul_f64_e32 v[67:68], v[34:35], v[6:7]
	v_mul_f64_e32 v[6:7], v[32:33], v[6:7]
	;; [unrolled: 3-line block ×7, first 2 shown]
	v_fma_f64 v[28:29], v[28:29], v[0:1], v[65:66]
	v_fma_f64 v[30:31], v[30:31], v[0:1], -v[2:3]
	v_fma_f64 v[32:33], v[32:33], v[4:5], v[67:68]
	v_fma_f64 v[34:35], v[34:35], v[4:5], -v[6:7]
	;; [unrolled: 2-line block ×7, first 2 shown]
	ds_load_b128 v[0:3], v44
	ds_load_b128 v[4:7], v44 offset:1008
	ds_load_b128 v[8:11], v44 offset:2016
	;; [unrolled: 1-line block ×5, first 2 shown]
	global_wb scope:SCOPE_SE
	s_wait_dscnt 0x0
	s_barrier_signal -1
	s_barrier_wait -1
	global_inv scope:SCOPE_SE
	v_add_f64_e64 v[24:25], v[0:1], -v[28:29]
	v_add_f64_e64 v[26:27], v[2:3], -v[30:31]
	;; [unrolled: 1-line block ×14, first 2 shown]
	v_fma_f64 v[0:1], v[0:1], 2.0, -v[24:25]
	v_fma_f64 v[2:3], v[2:3], 2.0, -v[26:27]
	;; [unrolled: 1-line block ×14, first 2 shown]
	ds_store_b128 v44, v[28:31] offset:8064
	ds_store_b128 v44, v[32:35] offset:9072
	;; [unrolled: 1-line block ×6, first 2 shown]
	ds_store_b128 v44, v[0:3]
	ds_store_b128 v44, v[4:7] offset:1008
	ds_store_b128 v44, v[8:11] offset:2016
	;; [unrolled: 1-line block ×7, first 2 shown]
	global_wb scope:SCOPE_SE
	s_wait_dscnt 0x0
	s_barrier_signal -1
	s_barrier_wait -1
	global_inv scope:SCOPE_SE
	s_and_saveexec_b32 s0, vcc_lo
	s_cbranch_execz .LBB0_21
; %bb.20:
	v_dual_mov_b32 v37, 0 :: v_dual_add_nc_u32 v8, 63, v36
	v_add_co_u32 v38, vcc_lo, s8, v38
	v_lshl_add_u32 v34, v36, 4, 0
	s_delay_alu instid0(VALU_DEP_3) | instskip(SKIP_4) | instid1(VALU_DEP_4)
	v_lshlrev_b64_e32 v[0:1], 4, v[36:37]
	s_wait_alu 0xfffd
	v_add_co_ci_u32_e32 v39, vcc_lo, s9, v39, vcc_lo
	v_dual_mov_b32 v9, v37 :: v_dual_add_nc_u32 v10, 0x7e, v36
	v_dual_mov_b32 v11, v37 :: v_dual_add_nc_u32 v22, 0xbd, v36
	v_add_co_u32 v16, vcc_lo, v38, v0
	s_wait_alu 0xfffd
	v_add_co_ci_u32_e32 v17, vcc_lo, v39, v1, vcc_lo
	ds_load_b128 v[0:3], v34
	ds_load_b128 v[4:7], v34 offset:1008
	v_lshlrev_b64_e32 v[18:19], 4, v[8:9]
	v_lshlrev_b64_e32 v[20:21], 4, v[10:11]
	ds_load_b128 v[8:11], v34 offset:2016
	ds_load_b128 v[12:15], v34 offset:3024
	v_dual_mov_b32 v23, v37 :: v_dual_add_nc_u32 v24, 0xfc, v36
	v_mov_b32_e32 v25, v37
	v_add_co_u32 v18, vcc_lo, v38, v18
	s_delay_alu instid0(VALU_DEP_3)
	v_lshlrev_b64_e32 v[22:23], 4, v[22:23]
	s_wait_alu 0xfffd
	v_add_co_ci_u32_e32 v19, vcc_lo, v39, v19, vcc_lo
	v_add_co_u32 v20, vcc_lo, v38, v20
	s_wait_alu 0xfffd
	v_add_co_ci_u32_e32 v21, vcc_lo, v39, v21, vcc_lo
	v_add_co_u32 v22, vcc_lo, v38, v22
	s_wait_alu 0xfffd
	v_add_co_ci_u32_e32 v23, vcc_lo, v39, v23, vcc_lo
	s_wait_dscnt 0x3
	global_store_b128 v[16:17], v[0:3], off
	s_wait_dscnt 0x2
	global_store_b128 v[18:19], v[4:7], off
	;; [unrolled: 2-line block ×4, first 2 shown]
	v_add_nc_u32_e32 v8, 0x13b, v36
	v_lshlrev_b64_e32 v[0:1], 4, v[24:25]
	v_dual_mov_b32 v9, v37 :: v_dual_add_nc_u32 v10, 0x17a, v36
	v_dual_mov_b32 v11, v37 :: v_dual_add_nc_u32 v22, 0x1b9, v36
	;; [unrolled: 1-line block ×3, first 2 shown]
	s_delay_alu instid0(VALU_DEP_4)
	v_add_co_u32 v16, vcc_lo, v38, v0
	s_wait_alu 0xfffd
	v_add_co_ci_u32_e32 v17, vcc_lo, v39, v1, vcc_lo
	ds_load_b128 v[0:3], v34 offset:4032
	ds_load_b128 v[4:7], v34 offset:5040
	v_lshlrev_b64_e32 v[18:19], 4, v[8:9]
	v_lshlrev_b64_e32 v[20:21], 4, v[10:11]
	ds_load_b128 v[8:11], v34 offset:6048
	ds_load_b128 v[12:15], v34 offset:7056
	v_lshlrev_b64_e32 v[22:23], 4, v[22:23]
	v_add_co_u32 v18, vcc_lo, v38, v18
	s_wait_alu 0xfffd
	v_add_co_ci_u32_e32 v19, vcc_lo, v39, v19, vcc_lo
	v_add_co_u32 v20, vcc_lo, v38, v20
	s_wait_alu 0xfffd
	v_add_co_ci_u32_e32 v21, vcc_lo, v39, v21, vcc_lo
	v_add_co_u32 v22, vcc_lo, v38, v22
	s_wait_dscnt 0x3
	global_store_b128 v[16:17], v[0:3], off
	s_wait_dscnt 0x2
	global_store_b128 v[18:19], v[4:7], off
	v_dual_mov_b32 v3, v37 :: v_dual_add_nc_u32 v2, 0x237, v36
	s_wait_alu 0xfffd
	v_add_co_ci_u32_e32 v23, vcc_lo, v39, v23, vcc_lo
	v_lshlrev_b64_e32 v[0:1], 4, v[24:25]
	s_wait_dscnt 0x1
	global_store_b128 v[20:21], v[8:11], off
	s_wait_dscnt 0x0
	global_store_b128 v[22:23], v[12:15], off
	v_lshlrev_b64_e32 v[8:9], 4, v[2:3]
	v_dual_mov_b32 v11, v37 :: v_dual_add_nc_u32 v10, 0x276, v36
	v_add_co_u32 v24, vcc_lo, v38, v0
	s_wait_alu 0xfffd
	v_add_co_ci_u32_e32 v25, vcc_lo, v39, v1, vcc_lo
	s_delay_alu instid0(VALU_DEP_4)
	v_add_co_u32 v26, vcc_lo, v38, v8
	s_wait_alu 0xfffd
	v_add_co_ci_u32_e32 v27, vcc_lo, v39, v9, vcc_lo
	v_lshlrev_b64_e32 v[8:9], 4, v[10:11]
	v_dual_mov_b32 v17, v37 :: v_dual_add_nc_u32 v16, 0x2b5, v36
	v_dual_mov_b32 v19, v37 :: v_dual_add_nc_u32 v18, 0x2f4, v36
	ds_load_b128 v[0:3], v34 offset:8064
	ds_load_b128 v[4:7], v34 offset:9072
	v_add_co_u32 v28, vcc_lo, v38, v8
	s_wait_alu 0xfffd
	v_add_co_ci_u32_e32 v29, vcc_lo, v39, v9, vcc_lo
	ds_load_b128 v[8:11], v34 offset:10080
	ds_load_b128 v[12:15], v34 offset:11088
	v_lshlrev_b64_e32 v[30:31], 4, v[16:17]
	v_lshlrev_b64_e32 v[32:33], 4, v[18:19]
	ds_load_b128 v[16:19], v34 offset:12096
	ds_load_b128 v[20:23], v34 offset:13104
	v_add_nc_u32_e32 v36, 0x333, v36
	v_add_co_u32 v30, vcc_lo, v38, v30
	s_delay_alu instid0(VALU_DEP_2)
	v_lshlrev_b64_e32 v[34:35], 4, v[36:37]
	s_wait_alu 0xfffd
	v_add_co_ci_u32_e32 v31, vcc_lo, v39, v31, vcc_lo
	v_add_co_u32 v32, vcc_lo, v38, v32
	s_wait_alu 0xfffd
	v_add_co_ci_u32_e32 v33, vcc_lo, v39, v33, vcc_lo
	v_add_co_u32 v34, vcc_lo, v38, v34
	s_wait_alu 0xfffd
	v_add_co_ci_u32_e32 v35, vcc_lo, v39, v35, vcc_lo
	s_wait_dscnt 0x5
	global_store_b128 v[24:25], v[0:3], off
	s_wait_dscnt 0x4
	global_store_b128 v[26:27], v[4:7], off
	;; [unrolled: 2-line block ×6, first 2 shown]
.LBB0_21:
	s_nop 0
	s_sendmsg sendmsg(MSG_DEALLOC_VGPRS)
	s_endpgm
	.section	.rodata,"a",@progbits
	.p2align	6, 0x0
	.amdhsa_kernel fft_rtc_back_len882_factors_9_7_7_2_wgs_63_tpt_63_dp_ip_CI_unitstride_sbrr_C2R_dirReg
		.amdhsa_group_segment_fixed_size 0
		.amdhsa_private_segment_fixed_size 0
		.amdhsa_kernarg_size 88
		.amdhsa_user_sgpr_count 2
		.amdhsa_user_sgpr_dispatch_ptr 0
		.amdhsa_user_sgpr_queue_ptr 0
		.amdhsa_user_sgpr_kernarg_segment_ptr 1
		.amdhsa_user_sgpr_dispatch_id 0
		.amdhsa_user_sgpr_private_segment_size 0
		.amdhsa_wavefront_size32 1
		.amdhsa_uses_dynamic_stack 0
		.amdhsa_enable_private_segment 0
		.amdhsa_system_sgpr_workgroup_id_x 1
		.amdhsa_system_sgpr_workgroup_id_y 0
		.amdhsa_system_sgpr_workgroup_id_z 0
		.amdhsa_system_sgpr_workgroup_info 0
		.amdhsa_system_vgpr_workitem_id 0
		.amdhsa_next_free_vgpr 111
		.amdhsa_next_free_sgpr 32
		.amdhsa_reserve_vcc 1
		.amdhsa_float_round_mode_32 0
		.amdhsa_float_round_mode_16_64 0
		.amdhsa_float_denorm_mode_32 3
		.amdhsa_float_denorm_mode_16_64 3
		.amdhsa_fp16_overflow 0
		.amdhsa_workgroup_processor_mode 1
		.amdhsa_memory_ordered 1
		.amdhsa_forward_progress 0
		.amdhsa_round_robin_scheduling 0
		.amdhsa_exception_fp_ieee_invalid_op 0
		.amdhsa_exception_fp_denorm_src 0
		.amdhsa_exception_fp_ieee_div_zero 0
		.amdhsa_exception_fp_ieee_overflow 0
		.amdhsa_exception_fp_ieee_underflow 0
		.amdhsa_exception_fp_ieee_inexact 0
		.amdhsa_exception_int_div_zero 0
	.end_amdhsa_kernel
	.text
.Lfunc_end0:
	.size	fft_rtc_back_len882_factors_9_7_7_2_wgs_63_tpt_63_dp_ip_CI_unitstride_sbrr_C2R_dirReg, .Lfunc_end0-fft_rtc_back_len882_factors_9_7_7_2_wgs_63_tpt_63_dp_ip_CI_unitstride_sbrr_C2R_dirReg
                                        ; -- End function
	.section	.AMDGPU.csdata,"",@progbits
; Kernel info:
; codeLenInByte = 10552
; NumSgprs: 34
; NumVgprs: 111
; ScratchSize: 0
; MemoryBound: 0
; FloatMode: 240
; IeeeMode: 1
; LDSByteSize: 0 bytes/workgroup (compile time only)
; SGPRBlocks: 4
; VGPRBlocks: 13
; NumSGPRsForWavesPerEU: 34
; NumVGPRsForWavesPerEU: 111
; Occupancy: 12
; WaveLimiterHint : 1
; COMPUTE_PGM_RSRC2:SCRATCH_EN: 0
; COMPUTE_PGM_RSRC2:USER_SGPR: 2
; COMPUTE_PGM_RSRC2:TRAP_HANDLER: 0
; COMPUTE_PGM_RSRC2:TGID_X_EN: 1
; COMPUTE_PGM_RSRC2:TGID_Y_EN: 0
; COMPUTE_PGM_RSRC2:TGID_Z_EN: 0
; COMPUTE_PGM_RSRC2:TIDIG_COMP_CNT: 0
	.text
	.p2alignl 7, 3214868480
	.fill 96, 4, 3214868480
	.type	__hip_cuid_738eb4beeb2e1864,@object ; @__hip_cuid_738eb4beeb2e1864
	.section	.bss,"aw",@nobits
	.globl	__hip_cuid_738eb4beeb2e1864
__hip_cuid_738eb4beeb2e1864:
	.byte	0                               ; 0x0
	.size	__hip_cuid_738eb4beeb2e1864, 1

	.ident	"AMD clang version 19.0.0git (https://github.com/RadeonOpenCompute/llvm-project roc-6.4.0 25133 c7fe45cf4b819c5991fe208aaa96edf142730f1d)"
	.section	".note.GNU-stack","",@progbits
	.addrsig
	.addrsig_sym __hip_cuid_738eb4beeb2e1864
	.amdgpu_metadata
---
amdhsa.kernels:
  - .args:
      - .actual_access:  read_only
        .address_space:  global
        .offset:         0
        .size:           8
        .value_kind:     global_buffer
      - .offset:         8
        .size:           8
        .value_kind:     by_value
      - .actual_access:  read_only
        .address_space:  global
        .offset:         16
        .size:           8
        .value_kind:     global_buffer
      - .actual_access:  read_only
        .address_space:  global
        .offset:         24
        .size:           8
        .value_kind:     global_buffer
      - .offset:         32
        .size:           8
        .value_kind:     by_value
      - .actual_access:  read_only
        .address_space:  global
        .offset:         40
        .size:           8
        .value_kind:     global_buffer
      - .actual_access:  read_only
        .address_space:  global
        .offset:         48
        .size:           8
        .value_kind:     global_buffer
      - .offset:         56
        .size:           4
        .value_kind:     by_value
      - .actual_access:  read_only
        .address_space:  global
        .offset:         64
        .size:           8
        .value_kind:     global_buffer
      - .actual_access:  read_only
        .address_space:  global
        .offset:         72
        .size:           8
        .value_kind:     global_buffer
      - .address_space:  global
        .offset:         80
        .size:           8
        .value_kind:     global_buffer
    .group_segment_fixed_size: 0
    .kernarg_segment_align: 8
    .kernarg_segment_size: 88
    .language:       OpenCL C
    .language_version:
      - 2
      - 0
    .max_flat_workgroup_size: 63
    .name:           fft_rtc_back_len882_factors_9_7_7_2_wgs_63_tpt_63_dp_ip_CI_unitstride_sbrr_C2R_dirReg
    .private_segment_fixed_size: 0
    .sgpr_count:     34
    .sgpr_spill_count: 0
    .symbol:         fft_rtc_back_len882_factors_9_7_7_2_wgs_63_tpt_63_dp_ip_CI_unitstride_sbrr_C2R_dirReg.kd
    .uniform_work_group_size: 1
    .uses_dynamic_stack: false
    .vgpr_count:     111
    .vgpr_spill_count: 0
    .wavefront_size: 32
    .workgroup_processor_mode: 1
amdhsa.target:   amdgcn-amd-amdhsa--gfx1201
amdhsa.version:
  - 1
  - 2
...

	.end_amdgpu_metadata
